;; amdgpu-corpus repo=ROCm/aiter kind=harvested arch=n/a opt=n/a

/root/src/amdgpu-assembly/repos/ROCm__aiter/hsa/gfx950/fmha_v3_bwd/bwd_hd192_odo_bf16_group.co:	file format elf64-amdgpu

Disassembly of section .text:

0000000000002400 <_ZN5aiter29fmha_bwd_hd192_odo_bf16_groupE>:
	s_and_b32 s1, s1, 0xffff                                   // 000000002400: 8601FF01 0000FFFF
	s_load_dwordx2 s[12:13], s[0:1], 0x0                       // 000000002408: C0060300 00000000
	s_load_dwordx2 s[20:21], s[0:1], 0x10                      // 000000002410: C0060500 00000010
	s_load_dwordx2 s[16:17], s[0:1], 0x20                      // 000000002418: C0060400 00000020
	s_load_dword s6, s[0:1], 0x30                              // 000000002420: C0020180 00000030
	s_load_dword s8, s[0:1], 0x50                              // 000000002428: C0020200 00000050
	s_load_dword s50, s[0:1], 0x60                             // 000000002430: C0020C80 00000060
	s_load_dword s52, s[0:1], 0x80                             // 000000002438: C0020D00 00000080
	s_load_dword s9, s[0:1], 0x90                              // 000000002440: C0020240 00000090
	s_load_dword s11, s[0:1], 0xb0                             // 000000002448: C00202C0 000000B0
	s_load_dword s37, s[0:1], 0xd0                             // 000000002450: C0020940 000000D0
	s_load_dwordx2 s[40:41], s[0:1], 0xe0                      // 000000002458: C0060A00 000000E0
	s_load_dwordx2 s[44:45], s[0:1], 0xf0                      // 000000002460: C0060B00 000000F0
	v_lshrrev_b32_e32 v1, 10, v0                               // 000000002468: 2002008A
	v_lshrrev_b32_e32 v2, 10, v1                               // 00000000246C: 2004028A
	v_and_b32_e32 v2, 0x3ff, v2                                // 000000002470: 260404FF 000003FF
	v_and_b32_e32 v1, 0x3ff, v1                                // 000000002478: 260202FF 000003FF
	v_and_b32_e32 v0, 0x3ff, v0                                // 000000002480: 260000FF 000003FF
	v_lshrrev_b32_e32 v3, 6, v0                                // 000000002488: 20060086
	v_and_b32_e32 v0, 63, v0                                   // 00000000248C: 260000BF
	s_mov_b32 s2, s2                                           // 000000002490: BE820002
	s_mov_b32 s3, s3                                           // 000000002494: BE830003
	s_mov_b32 s4, s4                                           // 000000002498: BE840004
	v_readfirstlane_b32 s30, v3                                // 00000000249C: 7E3C0503
	s_waitcnt lgkmcnt(0)                                       // 0000000024A0: BF8CC07F
	s_mul_i32 s31, s4, 4                                       // 0000000024A4: 921F8404
	s_add_u32 s40, s31, s40                                    // 0000000024A8: 8028281F
	s_addc_u32 s41, 0, s41                                     // 0000000024AC: 82292980
	s_load_dwordx2 s[42:43], s[40:41], 0x0                     // 0000000024B0: C0060A94 00000000
	s_add_u32 s44, s31, s44                                    // 0000000024B8: 802C2C1F
	s_addc_u32 s45, 0, s45                                     // 0000000024BC: 822D2D80
	s_load_dword s46, s[44:45], 0x0                            // 0000000024C0: C0020B96 00000000
	s_mov_b32 s15, 0x20000                                     // 0000000024C8: BE8F00FF 00020000
	s_mov_b32 s19, 0x20000                                     // 0000000024D0: BE9300FF 00020000
	s_mov_b32 s23, 0x20000                                     // 0000000024D8: BE9700FF 00020000
	s_and_b32 s13, s13, 0xffff                                 // 0000000024E0: 860DFF0D 0000FFFF
	s_and_b32 s17, s17, 0xffff                                 // 0000000024E8: 8611FF11 0000FFFF
	s_and_b32 s21, s21, 0xffff                                 // 0000000024F0: 8615FF15 0000FFFF
	s_or_b32 s13, s13, 0x40000                                 // 0000000024F8: 870DFF0D 00040000
	s_or_b32 s17, s17, 0x40000                                 // 000000002500: 8711FF11 00040000
	s_or_b32 s21, s21, 0x40000                                 // 000000002508: 8715FF15 00040000
	v_mov_b32_e32 v47, 0                                       // 000000002510: 7E5E0280
	s_mov_b32 s24, s12                                         // 000000002514: BE98000C
	s_mov_b32 s25, s13                                         // 000000002518: BE99000D
	s_mov_b32 s26, s16                                         // 00000000251C: BE9A0010
	s_mov_b32 s27, s17                                         // 000000002520: BE9B0011
	s_mov_b32 s28, s20                                         // 000000002524: BE9C0014
	s_mov_b32 s29, s21                                         // 000000002528: BE9D0015
	s_waitcnt lgkmcnt(0)                                       // 00000000252C: BF8CC07F
	s_mul_i32 s31, s2, 0x80                                    // 000000002530: 921FFF02 00000080
	s_sub_i32 s39, s43, s42                                    // 000000002538: 81A72A2B
	s_mov_b32 s42, s46                                         // 00000000253C: BEAA002E
	s_cmp_ge_i32 s31, s39                                      // 000000002540: BF03271F
	s_cbranch_scc1 label_0502                                  // 000000002544: BF8504B0
	s_mul_i32 s31, s8, 0x80                                    // 000000002548: 921FFF08 00000080
	s_mul_i32 s31, s2, s31                                     // 000000002550: 921F1F02
	s_mul_i32 s32, s3, s6                                      // 000000002554: 92200603
	s_mul_i32 s33, s42, s8                                     // 000000002558: 9221082A
	s_mul_hi_u32 s35, s42, s8                                  // 00000000255C: 9623082A
	s_add_u32 s34, s31, s32                                    // 000000002560: 8022201F
	s_add_u32 s34, s34, s33                                    // 000000002564: 80222122
	s_addc_u32 s35, s35, 0                                     // 000000002568: 82238023
	s_mul_i32 s32, s39, s8                                     // 00000000256C: 92200827
	s_sub_i32 s32, s32, s31                                    // 000000002570: 81A01F20
	s_mov_b32 s14, s32                                         // 000000002574: BE8E0020
	s_add_u32 s12, s34, s24                                    // 000000002578: 800C1822
	s_addc_u32 s13, s35, s25                                   // 00000000257C: 820D1923
	s_mul_i32 s31, s52, 0x80                                   // 000000002580: 921FFF34 00000080
	s_mul_i32 s31, s2, s31                                     // 000000002588: 921F1F02
	s_mul_i32 s32, s3, s50                                     // 00000000258C: 92203203
	s_mul_i32 s33, s42, s52                                    // 000000002590: 9221342A
	s_mul_hi_u32 s35, s42, s52                                 // 000000002594: 9623342A
	s_add_u32 s53, s31, s32                                    // 000000002598: 8035201F
	s_add_u32 s53, s53, s33                                    // 00000000259C: 80352135
	s_addc_u32 s35, s35, 0                                     // 0000000025A0: 82238023
	s_mul_i32 s32, s39, s52                                    // 0000000025A4: 92203427
	s_sub_i32 s32, s32, s31                                    // 0000000025A8: 81A01F20
	s_mov_b32 s22, s32                                         // 0000000025AC: BE960020
	s_add_u32 s20, s53, s28                                    // 0000000025B0: 80141C35
	s_addc_u32 s21, s35, s29                                   // 0000000025B4: 82151D23
	s_mul_i32 s31, s11, 0x80                                   // 0000000025B8: 921FFF0B 00000080
	s_mul_i32 s31, s2, s31                                     // 0000000025C0: 921F1F02
	s_mul_i32 s32, s3, s9                                      // 0000000025C4: 92200903
	s_add_u32 s35, s31, s32                                    // 0000000025C8: 8023201F
	s_mul_i32 s32, s39, s11                                    // 0000000025CC: 92200B27
	s_sub_i32 s32, s32, s31                                    // 0000000025D0: 81A01F20
	s_mov_b32 s18, s32                                         // 0000000025D4: BE920020
	s_add_u32 s16, s35, s26                                    // 0000000025D8: 80101A23
	s_addc_u32 s17, 0, s27                                     // 0000000025DC: 82111B80
	s_mul_i32 s31, s42, s11                                    // 0000000025E0: 921F0B2A
	s_mul_hi_u32 s32, s42, s11                                 // 0000000025E4: 96200B2A
	s_and_b32 s32, s32, 0xffff                                 // 0000000025E8: 8620FF20 0000FFFF
	s_add_u32 s16, s16, s31                                    // 0000000025F0: 80101F10
	s_addc_u32 s17, s17, s32                                   // 0000000025F4: 82112011
	v_readfirstlane_b32 s30, v3                                // 0000000025F8: 7E3C0503
	v_lshrrev_b32_e32 v36, 3, v0                               // 0000000025FC: 20480083
	v_mul_i32_i24_e32 v36, s8, v36                             // 000000002600: 0C484808
	v_and_b32_e32 v37, 7, v0                                   // 000000002604: 264A0087
	v_mul_i32_i24_e32 v37, 16, v37                             // 000000002608: 0C4A4A90
	v_add_u32_e32 v37, v36, v37                                // 00000000260C: 684A4B24
	v_mov_b32_e32 v4, v37                                      // 000000002610: 7E080325
	s_mul_i32 s31, 32, s8                                      // 000000002614: 921F08A0
	s_mul_i32 s31, s30, s31                                    // 000000002618: 921F1F1E
	v_add_u32_e32 v4, s31, v4                                  // 00000000261C: 6808081F
	v_lshrrev_b32_e32 v36, 3, v0                               // 000000002620: 20480083
	v_mul_i32_i24_e32 v36, s52, v36                            // 000000002624: 0C484834
	v_and_b32_e32 v37, 7, v0                                   // 000000002628: 264A0087
	v_mul_i32_i24_e32 v37, 16, v37                             // 00000000262C: 0C4A4A90
	v_add_u32_e32 v37, v36, v37                                // 000000002630: 684A4B24
	v_mov_b32_e32 v45, v37                                     // 000000002634: 7E5A0325
	s_mul_i32 s31, 32, s52                                     // 000000002638: 921F34A0
	s_mul_i32 s31, s30, s31                                    // 00000000263C: 921F1F1E
	v_add_u32_e32 v45, s31, v45                                // 000000002640: 685A5A1F
	v_lshrrev_b32_e32 v5, 3, v0                                // 000000002644: 200A0083
	v_mul_i32_i24_e32 v5, s11, v5                              // 000000002648: 0C0A0A0B
	v_and_b32_e32 v36, 7, v0                                   // 00000000264C: 26480087
	v_lshrrev_b32_e32 v36, 1, v36                              // 000000002650: 20484881
	v_lshlrev_b32_e32 v36, 5, v36                              // 000000002654: 24484885
	v_add_u32_e32 v5, v5, v36                                  // 000000002658: 680A4905
	s_mul_i32 s31, 32, s11                                     // 00000000265C: 921F0BA0
	s_mul_i32 s31, s30, s31                                    // 000000002660: 921F1F1E
	v_add_u32_e32 v5, s31, v5                                  // 000000002664: 680A0A1F
	v_and_b32_e32 v36, 7, v0                                   // 000000002668: 26480087
	v_lshlrev_b32_e32 v36, 3, v36                              // 00000000266C: 24484883
	s_sub_i32 s31, s37, 0x80                                   // 000000002670: 819FFF25 00000080
	v_cmp_lt_u32_e64 s[36:37], v36, s31                        // 000000002678: D0C90024 00003F24
	v_and_b32_e32 v36, 1, v0                                   // 000000002680: 26480081
	v_cmp_eq_u32_e64 s[38:39], v36, 0                          // 000000002684: D0CA0026 00010124
	v_lshlrev_b32_e32 v32, 2, v0                               // 00000000268C: 24400082
	s_lshl_b32 s31, s30, 8                                     // 000000002690: 8E1F881E
	v_add_u32_e32 v32, s31, v32                                // 000000002694: 6840401F
	v_lshrrev_b32_e32 v34, 3, v0                               // 000000002698: 20440083
	v_mul_i32_i24_e32 v34, 32, v34                             // 00000000269C: 0C4444A0
	v_add_u32_e32 v34, s31, v34                                // 0000000026A0: 6844441F
	v_add_u32_e32 v35, 16, v34                                 // 0000000026A4: 68464490
	v_mov_b32_e32 v30, 0                                       // 0000000026A8: 7E3C0280
	s_mul_i32 s31, s8, 0                                       // 0000000026AC: 921F8008
	s_lshl_b32 s31, s31, 3                                     // 0000000026B0: 8E1F831F
	v_add_u32_e32 v31, s31, v4                                 // 0000000026B4: 683E081F
	s_mul_i32 s31, s52, 0                                      // 0000000026B8: 921F8034
	s_lshl_b32 s31, s31, 3                                     // 0000000026BC: 8E1F831F
	v_add_u32_e32 v46, s31, v45                                // 0000000026C0: 685C5A1F
	v_and_b32_e32 v44, 7, v0                                   // 0000000026C4: 26580087
	v_cmp_eq_u32_e64 s[48:49], v44, 0                          // 0000000026C8: D0CA0030 0001012C
	buffer_load_dwordx4 v[18:21], v46, s[20:23], 0 offen       // 0000000026D0: E05C1000 8005122E
	buffer_load_dwordx4 v[6:9], v31, s[12:15], 0 offen         // 0000000026D8: E05C1000 8003061F
	v_add_u32_e32 v31, 0x80, v31                               // 0000000026E0: 683E3EFF 00000080
	v_add_u32_e32 v46, 0x80, v46                               // 0000000026E8: 685C5CFF 00000080
	s_waitcnt vmcnt(0) expcnt(0) lgkmcnt(0)                    // 0000000026F0: BF8C0000
	s_barrier                                                  // 0000000026F4: BF8A0000
	buffer_load_dwordx4 v[22:25], v46, s[20:23], 0 offen       // 0000000026F8: E05C1000 8005162E
	buffer_load_dwordx4 v[10:13], v31, s[12:15], 0 offen       // 000000002700: E05C1000 80030A1F
	v_add_u32_e32 v31, 0x80, v31                               // 000000002708: 683E3EFF 00000080
	v_add_u32_e32 v46, 0x80, v46                               // 000000002710: 685C5CFF 00000080
	v_mov_b32_e32 v40, 0                                       // 000000002718: 7E500280
	v_and_b32_e32 v36, 0xffff, v6                              // 00000000271C: 26480CFF 0000FFFF
	v_lshrrev_b32_e32 v37, 16, v6                              // 000000002724: 204A0C90
	v_and_b32_e32 v38, 0xffff, v18                             // 000000002728: 264C24FF 0000FFFF
	v_lshrrev_b32_e32 v39, 16, v18                             // 000000002730: 204E2490
	v_cvt_f32_bf16_e32 v36, v36                                // 000000002734: 7E48B724
	v_cvt_f32_bf16_e32 v38, v38                                // 000000002738: 7E4CB726
	v_cvt_f32_bf16_e32 v37, v37                                // 00000000273C: 7E4AB725
	v_cvt_f32_bf16_e32 v39, v39                                // 000000002740: 7E4EB727
	v_fma_f32 v40, v36, v38, v40                               // 000000002744: D1CB0028 04A24D24
	v_fma_f32 v40, v37, v39, v40                               // 00000000274C: D1CB0028 04A24F25
	v_and_b32_e32 v36, 0xffff, v7                              // 000000002754: 26480EFF 0000FFFF
	v_lshrrev_b32_e32 v37, 16, v7                              // 00000000275C: 204A0E90
	v_and_b32_e32 v38, 0xffff, v19                             // 000000002760: 264C26FF 0000FFFF
	v_lshrrev_b32_e32 v39, 16, v19                             // 000000002768: 204E2690
	v_cvt_f32_bf16_e32 v36, v36                                // 00000000276C: 7E48B724
	v_cvt_f32_bf16_e32 v38, v38                                // 000000002770: 7E4CB726
	v_cvt_f32_bf16_e32 v37, v37                                // 000000002774: 7E4AB725
	v_cvt_f32_bf16_e32 v39, v39                                // 000000002778: 7E4EB727
	v_fma_f32 v40, v36, v38, v40                               // 00000000277C: D1CB0028 04A24D24
	v_fma_f32 v40, v37, v39, v40                               // 000000002784: D1CB0028 04A24F25
	v_and_b32_e32 v36, 0xffff, v8                              // 00000000278C: 264810FF 0000FFFF
	v_lshrrev_b32_e32 v37, 16, v8                              // 000000002794: 204A1090
	v_and_b32_e32 v38, 0xffff, v20                             // 000000002798: 264C28FF 0000FFFF
	v_lshrrev_b32_e32 v39, 16, v20                             // 0000000027A0: 204E2890
	v_cvt_f32_bf16_e32 v36, v36                                // 0000000027A4: 7E48B724
	v_cvt_f32_bf16_e32 v38, v38                                // 0000000027A8: 7E4CB726
	v_cvt_f32_bf16_e32 v37, v37                                // 0000000027AC: 7E4AB725
	v_cvt_f32_bf16_e32 v39, v39                                // 0000000027B0: 7E4EB727
	v_fma_f32 v40, v36, v38, v40                               // 0000000027B4: D1CB0028 04A24D24
	v_fma_f32 v40, v37, v39, v40                               // 0000000027BC: D1CB0028 04A24F25
	v_and_b32_e32 v36, 0xffff, v9                              // 0000000027C4: 264812FF 0000FFFF
	v_lshrrev_b32_e32 v37, 16, v9                              // 0000000027CC: 204A1290
	v_and_b32_e32 v38, 0xffff, v21                             // 0000000027D0: 264C2AFF 0000FFFF
	v_lshrrev_b32_e32 v39, 16, v21                             // 0000000027D8: 204E2A90
	v_cvt_f32_bf16_e32 v36, v36                                // 0000000027DC: 7E48B724
	v_cvt_f32_bf16_e32 v38, v38                                // 0000000027E0: 7E4CB726
	v_cvt_f32_bf16_e32 v37, v37                                // 0000000027E4: 7E4AB725
	v_cvt_f32_bf16_e32 v39, v39                                // 0000000027E8: 7E4EB727
	v_fma_f32 v40, v36, v38, v40                               // 0000000027EC: D1CB0028 04A24D24
	v_fma_f32 v40, v37, v39, v40                               // 0000000027F4: D1CB0028 04A24F25
	ds_write_b32 v32, v40                                      // 0000000027FC: D81A0000 00002820
	s_waitcnt lgkmcnt(0)                                       // 000000002804: BF8CC07F
	s_mov_b64 exec, s[48:49]                                   // 000000002808: BEFE0130
	ds_read_b128 v[36:39], v34                                 // 00000000280C: D9FE0000 24000022
	s_waitcnt lgkmcnt(0)                                       // 000000002814: BF8CC07F
	ds_read_b128 v[40:43], v35                                 // 000000002818: D9FE0000 28000023
	s_waitcnt lgkmcnt(0)                                       // 000000002820: BF8CC07F
	v_add_f32_e32 v30, v36, v30                                // 000000002824: 023C3D24
	v_add_f32_e32 v30, v37, v30                                // 000000002828: 023C3D25
	v_add_f32_e32 v30, v38, v30                                // 00000000282C: 023C3D26
	v_add_f32_e32 v30, v39, v30                                // 000000002830: 023C3D27
	v_add_f32_e32 v30, v40, v30                                // 000000002834: 023C3D28
	v_add_f32_e32 v30, v41, v30                                // 000000002838: 023C3D29
	v_add_f32_e32 v30, v42, v30                                // 00000000283C: 023C3D2A
	v_add_f32_e32 v30, v43, v30                                // 000000002840: 023C3D2B
	s_mov_b64 exec, -1                                         // 000000002844: BEFE01C1
	s_waitcnt vmcnt(0) expcnt(0) lgkmcnt(0)                    // 000000002848: BF8C0000
	s_barrier                                                  // 00000000284C: BF8A0000
	v_mov_b32_e32 v26, 0                                       // 000000002850: 7E340280
	v_mov_b32_e32 v14, 0                                       // 000000002854: 7E1C0280
	v_mov_b32_e32 v27, 0                                       // 000000002858: 7E360280
	v_mov_b32_e32 v15, 0                                       // 00000000285C: 7E1E0280
	v_mov_b32_e32 v28, 0                                       // 000000002860: 7E380280
	v_mov_b32_e32 v16, 0                                       // 000000002864: 7E200280
	v_mov_b32_e32 v29, 0                                       // 000000002868: 7E3A0280
	v_mov_b32_e32 v17, 0                                       // 00000000286C: 7E220280
	s_mov_b64 exec, s[36:37]                                   // 000000002870: BEFE0124
	buffer_load_dwordx4 v[26:29], v46, s[20:23], 0 offen       // 000000002874: E05C1000 80051A2E
	buffer_load_dwordx4 v[14:17], v31, s[12:15], 0 offen       // 00000000287C: E05C1000 80030E1F
	s_mov_b64 exec, -1                                         // 000000002884: BEFE01C1
	v_add_u32_e32 v31, 0x80, v31                               // 000000002888: 683E3EFF 00000080
	v_add_u32_e32 v46, 0x80, v46                               // 000000002890: 685C5CFF 00000080
	v_mov_b32_e32 v40, 0                                       // 000000002898: 7E500280
	v_and_b32_e32 v36, 0xffff, v10                             // 00000000289C: 264814FF 0000FFFF
	v_lshrrev_b32_e32 v37, 16, v10                             // 0000000028A4: 204A1490
	v_and_b32_e32 v38, 0xffff, v22                             // 0000000028A8: 264C2CFF 0000FFFF
	v_lshrrev_b32_e32 v39, 16, v22                             // 0000000028B0: 204E2C90
	v_cvt_f32_bf16_e32 v36, v36                                // 0000000028B4: 7E48B724
	v_cvt_f32_bf16_e32 v38, v38                                // 0000000028B8: 7E4CB726
	v_cvt_f32_bf16_e32 v37, v37                                // 0000000028BC: 7E4AB725
	v_cvt_f32_bf16_e32 v39, v39                                // 0000000028C0: 7E4EB727
	v_fma_f32 v40, v36, v38, v40                               // 0000000028C4: D1CB0028 04A24D24
	v_fma_f32 v40, v37, v39, v40                               // 0000000028CC: D1CB0028 04A24F25
	v_and_b32_e32 v36, 0xffff, v11                             // 0000000028D4: 264816FF 0000FFFF
	v_lshrrev_b32_e32 v37, 16, v11                             // 0000000028DC: 204A1690
	v_and_b32_e32 v38, 0xffff, v23                             // 0000000028E0: 264C2EFF 0000FFFF
	v_lshrrev_b32_e32 v39, 16, v23                             // 0000000028E8: 204E2E90
	v_cvt_f32_bf16_e32 v36, v36                                // 0000000028EC: 7E48B724
	v_cvt_f32_bf16_e32 v38, v38                                // 0000000028F0: 7E4CB726
	v_cvt_f32_bf16_e32 v37, v37                                // 0000000028F4: 7E4AB725
	v_cvt_f32_bf16_e32 v39, v39                                // 0000000028F8: 7E4EB727
	v_fma_f32 v40, v36, v38, v40                               // 0000000028FC: D1CB0028 04A24D24
	v_fma_f32 v40, v37, v39, v40                               // 000000002904: D1CB0028 04A24F25
	v_and_b32_e32 v36, 0xffff, v12                             // 00000000290C: 264818FF 0000FFFF
	v_lshrrev_b32_e32 v37, 16, v12                             // 000000002914: 204A1890
	v_and_b32_e32 v38, 0xffff, v24                             // 000000002918: 264C30FF 0000FFFF
	v_lshrrev_b32_e32 v39, 16, v24                             // 000000002920: 204E3090
	v_cvt_f32_bf16_e32 v36, v36                                // 000000002924: 7E48B724
	v_cvt_f32_bf16_e32 v38, v38                                // 000000002928: 7E4CB726
	v_cvt_f32_bf16_e32 v37, v37                                // 00000000292C: 7E4AB725
	v_cvt_f32_bf16_e32 v39, v39                                // 000000002930: 7E4EB727
	v_fma_f32 v40, v36, v38, v40                               // 000000002934: D1CB0028 04A24D24
	v_fma_f32 v40, v37, v39, v40                               // 00000000293C: D1CB0028 04A24F25
	v_and_b32_e32 v36, 0xffff, v13                             // 000000002944: 26481AFF 0000FFFF
	v_lshrrev_b32_e32 v37, 16, v13                             // 00000000294C: 204A1A90
	v_and_b32_e32 v38, 0xffff, v25                             // 000000002950: 264C32FF 0000FFFF
	v_lshrrev_b32_e32 v39, 16, v25                             // 000000002958: 204E3290
	v_cvt_f32_bf16_e32 v36, v36                                // 00000000295C: 7E48B724
	v_cvt_f32_bf16_e32 v38, v38                                // 000000002960: 7E4CB726
	v_cvt_f32_bf16_e32 v37, v37                                // 000000002964: 7E4AB725
	v_cvt_f32_bf16_e32 v39, v39                                // 000000002968: 7E4EB727
	v_fma_f32 v40, v36, v38, v40                               // 00000000296C: D1CB0028 04A24D24
	v_fma_f32 v40, v37, v39, v40                               // 000000002974: D1CB0028 04A24F25
	ds_write_b32 v32, v40                                      // 00000000297C: D81A0000 00002820
	s_waitcnt lgkmcnt(0)                                       // 000000002984: BF8CC07F
	s_mov_b64 exec, s[48:49]                                   // 000000002988: BEFE0130
	ds_read_b128 v[36:39], v34                                 // 00000000298C: D9FE0000 24000022
	s_waitcnt lgkmcnt(0)                                       // 000000002994: BF8CC07F
	ds_read_b128 v[40:43], v35                                 // 000000002998: D9FE0000 28000023
	s_waitcnt lgkmcnt(0)                                       // 0000000029A0: BF8CC07F
	v_add_f32_e32 v30, v36, v30                                // 0000000029A4: 023C3D24
	v_add_f32_e32 v30, v37, v30                                // 0000000029A8: 023C3D25
	v_add_f32_e32 v30, v38, v30                                // 0000000029AC: 023C3D26
	v_add_f32_e32 v30, v39, v30                                // 0000000029B0: 023C3D27
	v_add_f32_e32 v30, v40, v30                                // 0000000029B4: 023C3D28
	v_add_f32_e32 v30, v41, v30                                // 0000000029B8: 023C3D29
	v_add_f32_e32 v30, v42, v30                                // 0000000029BC: 023C3D2A
	v_add_f32_e32 v30, v43, v30                                // 0000000029C0: 023C3D2B
	s_mov_b64 exec, -1                                         // 0000000029C4: BEFE01C1
	s_waitcnt vmcnt(0) expcnt(0) lgkmcnt(0)                    // 0000000029C8: BF8C0000
	s_barrier                                                  // 0000000029CC: BF8A0000
	v_mov_b32_e32 v40, 0                                       // 0000000029D0: 7E500280
	v_and_b32_e32 v36, 0xffff, v14                             // 0000000029D4: 26481CFF 0000FFFF
	v_lshrrev_b32_e32 v37, 16, v14                             // 0000000029DC: 204A1C90
	v_and_b32_e32 v38, 0xffff, v26                             // 0000000029E0: 264C34FF 0000FFFF
	v_lshrrev_b32_e32 v39, 16, v26                             // 0000000029E8: 204E3490
	v_cvt_f32_bf16_e32 v36, v36                                // 0000000029EC: 7E48B724
	v_cvt_f32_bf16_e32 v38, v38                                // 0000000029F0: 7E4CB726
	v_cvt_f32_bf16_e32 v37, v37                                // 0000000029F4: 7E4AB725
	v_cvt_f32_bf16_e32 v39, v39                                // 0000000029F8: 7E4EB727
	v_fma_f32 v40, v36, v38, v40                               // 0000000029FC: D1CB0028 04A24D24
	v_fma_f32 v40, v37, v39, v40                               // 000000002A04: D1CB0028 04A24F25
	v_and_b32_e32 v36, 0xffff, v15                             // 000000002A0C: 26481EFF 0000FFFF
	v_lshrrev_b32_e32 v37, 16, v15                             // 000000002A14: 204A1E90
	v_and_b32_e32 v38, 0xffff, v27                             // 000000002A18: 264C36FF 0000FFFF
	v_lshrrev_b32_e32 v39, 16, v27                             // 000000002A20: 204E3690
	v_cvt_f32_bf16_e32 v36, v36                                // 000000002A24: 7E48B724
	v_cvt_f32_bf16_e32 v38, v38                                // 000000002A28: 7E4CB726
	v_cvt_f32_bf16_e32 v37, v37                                // 000000002A2C: 7E4AB725
	v_cvt_f32_bf16_e32 v39, v39                                // 000000002A30: 7E4EB727
	v_fma_f32 v40, v36, v38, v40                               // 000000002A34: D1CB0028 04A24D24
	v_fma_f32 v40, v37, v39, v40                               // 000000002A3C: D1CB0028 04A24F25
	v_and_b32_e32 v36, 0xffff, v16                             // 000000002A44: 264820FF 0000FFFF
	v_lshrrev_b32_e32 v37, 16, v16                             // 000000002A4C: 204A2090
	v_and_b32_e32 v38, 0xffff, v28                             // 000000002A50: 264C38FF 0000FFFF
	v_lshrrev_b32_e32 v39, 16, v28                             // 000000002A58: 204E3890
	v_cvt_f32_bf16_e32 v36, v36                                // 000000002A5C: 7E48B724
	v_cvt_f32_bf16_e32 v38, v38                                // 000000002A60: 7E4CB726
	v_cvt_f32_bf16_e32 v37, v37                                // 000000002A64: 7E4AB725
	v_cvt_f32_bf16_e32 v39, v39                                // 000000002A68: 7E4EB727
	v_fma_f32 v40, v36, v38, v40                               // 000000002A6C: D1CB0028 04A24D24
	v_fma_f32 v40, v37, v39, v40                               // 000000002A74: D1CB0028 04A24F25
	v_and_b32_e32 v36, 0xffff, v17                             // 000000002A7C: 264822FF 0000FFFF
	v_lshrrev_b32_e32 v37, 16, v17                             // 000000002A84: 204A2290
	v_and_b32_e32 v38, 0xffff, v29                             // 000000002A88: 264C3AFF 0000FFFF
	v_lshrrev_b32_e32 v39, 16, v29                             // 000000002A90: 204E3A90
	v_cvt_f32_bf16_e32 v36, v36                                // 000000002A94: 7E48B724
	v_cvt_f32_bf16_e32 v38, v38                                // 000000002A98: 7E4CB726
	v_cvt_f32_bf16_e32 v37, v37                                // 000000002A9C: 7E4AB725
	v_cvt_f32_bf16_e32 v39, v39                                // 000000002AA0: 7E4EB727
	v_fma_f32 v40, v36, v38, v40                               // 000000002AA4: D1CB0028 04A24D24
	v_fma_f32 v40, v37, v39, v40                               // 000000002AAC: D1CB0028 04A24F25
	ds_write_b32 v32, v40                                      // 000000002AB4: D81A0000 00002820
	s_waitcnt lgkmcnt(0)                                       // 000000002ABC: BF8CC07F
	s_mov_b64 exec, s[48:49]                                   // 000000002AC0: BEFE0130
	ds_read_b128 v[36:39], v34                                 // 000000002AC4: D9FE0000 24000022
	s_waitcnt lgkmcnt(0)                                       // 000000002ACC: BF8CC07F
	ds_read_b128 v[40:43], v35                                 // 000000002AD0: D9FE0000 28000023
	s_waitcnt lgkmcnt(0)                                       // 000000002AD8: BF8CC07F
	v_add_f32_e32 v30, v36, v30                                // 000000002ADC: 023C3D24
	v_add_f32_e32 v30, v37, v30                                // 000000002AE0: 023C3D25
	v_add_f32_e32 v30, v38, v30                                // 000000002AE4: 023C3D26
	v_add_f32_e32 v30, v39, v30                                // 000000002AE8: 023C3D27
	v_add_f32_e32 v30, v40, v30                                // 000000002AEC: 023C3D28
	v_add_f32_e32 v30, v41, v30                                // 000000002AF0: 023C3D29
	v_add_f32_e32 v30, v42, v30                                // 000000002AF4: 023C3D2A
	v_add_f32_e32 v30, v43, v30                                // 000000002AF8: 023C3D2B
	s_mov_b64 exec, -1                                         // 000000002AFC: BEFE01C1
	s_mul_i32 s31, s8, 1                                       // 000000002B00: 921F8108
	s_lshl_b32 s31, s31, 3                                     // 000000002B04: 8E1F831F
	v_add_u32_e32 v31, s31, v4                                 // 000000002B08: 683E081F
	s_mul_i32 s31, s52, 1                                      // 000000002B0C: 921F8134
	s_lshl_b32 s31, s31, 3                                     // 000000002B10: 8E1F831F
	v_add_u32_e32 v46, s31, v45                                // 000000002B14: 685C5A1F
	v_and_b32_e32 v44, 7, v0                                   // 000000002B18: 26580087
	v_cmp_eq_u32_e64 s[48:49], v44, 2                          // 000000002B1C: D0CA0030 0001052C
	buffer_load_dwordx4 v[18:21], v46, s[20:23], 0 offen       // 000000002B24: E05C1000 8005122E
	buffer_load_dwordx4 v[6:9], v31, s[12:15], 0 offen         // 000000002B2C: E05C1000 8003061F
	v_add_u32_e32 v31, 0x80, v31                               // 000000002B34: 683E3EFF 00000080
	v_add_u32_e32 v46, 0x80, v46                               // 000000002B3C: 685C5CFF 00000080
	s_waitcnt vmcnt(0) expcnt(0) lgkmcnt(0)                    // 000000002B44: BF8C0000
	s_barrier                                                  // 000000002B48: BF8A0000
	buffer_load_dwordx4 v[22:25], v46, s[20:23], 0 offen       // 000000002B4C: E05C1000 8005162E
	buffer_load_dwordx4 v[10:13], v31, s[12:15], 0 offen       // 000000002B54: E05C1000 80030A1F
	v_add_u32_e32 v31, 0x80, v31                               // 000000002B5C: 683E3EFF 00000080
	v_add_u32_e32 v46, 0x80, v46                               // 000000002B64: 685C5CFF 00000080
	v_mov_b32_e32 v40, 0                                       // 000000002B6C: 7E500280
	v_and_b32_e32 v36, 0xffff, v6                              // 000000002B70: 26480CFF 0000FFFF
	v_lshrrev_b32_e32 v37, 16, v6                              // 000000002B78: 204A0C90
	v_and_b32_e32 v38, 0xffff, v18                             // 000000002B7C: 264C24FF 0000FFFF
	v_lshrrev_b32_e32 v39, 16, v18                             // 000000002B84: 204E2490
	v_cvt_f32_bf16_e32 v36, v36                                // 000000002B88: 7E48B724
	v_cvt_f32_bf16_e32 v38, v38                                // 000000002B8C: 7E4CB726
	v_cvt_f32_bf16_e32 v37, v37                                // 000000002B90: 7E4AB725
	v_cvt_f32_bf16_e32 v39, v39                                // 000000002B94: 7E4EB727
	v_fma_f32 v40, v36, v38, v40                               // 000000002B98: D1CB0028 04A24D24
	v_fma_f32 v40, v37, v39, v40                               // 000000002BA0: D1CB0028 04A24F25
	v_and_b32_e32 v36, 0xffff, v7                              // 000000002BA8: 26480EFF 0000FFFF
	v_lshrrev_b32_e32 v37, 16, v7                              // 000000002BB0: 204A0E90
	v_and_b32_e32 v38, 0xffff, v19                             // 000000002BB4: 264C26FF 0000FFFF
	v_lshrrev_b32_e32 v39, 16, v19                             // 000000002BBC: 204E2690
	v_cvt_f32_bf16_e32 v36, v36                                // 000000002BC0: 7E48B724
	v_cvt_f32_bf16_e32 v38, v38                                // 000000002BC4: 7E4CB726
	v_cvt_f32_bf16_e32 v37, v37                                // 000000002BC8: 7E4AB725
	v_cvt_f32_bf16_e32 v39, v39                                // 000000002BCC: 7E4EB727
	v_fma_f32 v40, v36, v38, v40                               // 000000002BD0: D1CB0028 04A24D24
	v_fma_f32 v40, v37, v39, v40                               // 000000002BD8: D1CB0028 04A24F25
	v_and_b32_e32 v36, 0xffff, v8                              // 000000002BE0: 264810FF 0000FFFF
	v_lshrrev_b32_e32 v37, 16, v8                              // 000000002BE8: 204A1090
	v_and_b32_e32 v38, 0xffff, v20                             // 000000002BEC: 264C28FF 0000FFFF
	v_lshrrev_b32_e32 v39, 16, v20                             // 000000002BF4: 204E2890
	v_cvt_f32_bf16_e32 v36, v36                                // 000000002BF8: 7E48B724
	v_cvt_f32_bf16_e32 v38, v38                                // 000000002BFC: 7E4CB726
	v_cvt_f32_bf16_e32 v37, v37                                // 000000002C00: 7E4AB725
	v_cvt_f32_bf16_e32 v39, v39                                // 000000002C04: 7E4EB727
	v_fma_f32 v40, v36, v38, v40                               // 000000002C08: D1CB0028 04A24D24
	v_fma_f32 v40, v37, v39, v40                               // 000000002C10: D1CB0028 04A24F25
	v_and_b32_e32 v36, 0xffff, v9                              // 000000002C18: 264812FF 0000FFFF
	v_lshrrev_b32_e32 v37, 16, v9                              // 000000002C20: 204A1290
	v_and_b32_e32 v38, 0xffff, v21                             // 000000002C24: 264C2AFF 0000FFFF
	v_lshrrev_b32_e32 v39, 16, v21                             // 000000002C2C: 204E2A90
	v_cvt_f32_bf16_e32 v36, v36                                // 000000002C30: 7E48B724
	v_cvt_f32_bf16_e32 v38, v38                                // 000000002C34: 7E4CB726
	v_cvt_f32_bf16_e32 v37, v37                                // 000000002C38: 7E4AB725
	v_cvt_f32_bf16_e32 v39, v39                                // 000000002C3C: 7E4EB727
	v_fma_f32 v40, v36, v38, v40                               // 000000002C40: D1CB0028 04A24D24
	v_fma_f32 v40, v37, v39, v40                               // 000000002C48: D1CB0028 04A24F25
	ds_write_b32 v32, v40                                      // 000000002C50: D81A0000 00002820
	s_waitcnt lgkmcnt(0)                                       // 000000002C58: BF8CC07F
	s_mov_b64 exec, s[48:49]                                   // 000000002C5C: BEFE0130
	ds_read_b128 v[36:39], v34                                 // 000000002C60: D9FE0000 24000022
	s_waitcnt lgkmcnt(0)                                       // 000000002C68: BF8CC07F
	ds_read_b128 v[40:43], v35                                 // 000000002C6C: D9FE0000 28000023
	s_waitcnt lgkmcnt(0)                                       // 000000002C74: BF8CC07F
	v_add_f32_e32 v30, v36, v30                                // 000000002C78: 023C3D24
	v_add_f32_e32 v30, v37, v30                                // 000000002C7C: 023C3D25
	v_add_f32_e32 v30, v38, v30                                // 000000002C80: 023C3D26
	v_add_f32_e32 v30, v39, v30                                // 000000002C84: 023C3D27
	v_add_f32_e32 v30, v40, v30                                // 000000002C88: 023C3D28
	v_add_f32_e32 v30, v41, v30                                // 000000002C8C: 023C3D29
	v_add_f32_e32 v30, v42, v30                                // 000000002C90: 023C3D2A
	v_add_f32_e32 v30, v43, v30                                // 000000002C94: 023C3D2B
	s_mov_b64 exec, -1                                         // 000000002C98: BEFE01C1
	s_waitcnt vmcnt(0) expcnt(0) lgkmcnt(0)                    // 000000002C9C: BF8C0000
	s_barrier                                                  // 000000002CA0: BF8A0000
	v_mov_b32_e32 v26, 0                                       // 000000002CA4: 7E340280
	v_mov_b32_e32 v14, 0                                       // 000000002CA8: 7E1C0280
	v_mov_b32_e32 v27, 0                                       // 000000002CAC: 7E360280
	v_mov_b32_e32 v15, 0                                       // 000000002CB0: 7E1E0280
	v_mov_b32_e32 v28, 0                                       // 000000002CB4: 7E380280
	v_mov_b32_e32 v16, 0                                       // 000000002CB8: 7E200280
	v_mov_b32_e32 v29, 0                                       // 000000002CBC: 7E3A0280
	v_mov_b32_e32 v17, 0                                       // 000000002CC0: 7E220280
	s_mov_b64 exec, s[36:37]                                   // 000000002CC4: BEFE0124
	buffer_load_dwordx4 v[26:29], v46, s[20:23], 0 offen       // 000000002CC8: E05C1000 80051A2E
	buffer_load_dwordx4 v[14:17], v31, s[12:15], 0 offen       // 000000002CD0: E05C1000 80030E1F
	s_mov_b64 exec, -1                                         // 000000002CD8: BEFE01C1
	v_add_u32_e32 v31, 0x80, v31                               // 000000002CDC: 683E3EFF 00000080
	v_add_u32_e32 v46, 0x80, v46                               // 000000002CE4: 685C5CFF 00000080
	v_mov_b32_e32 v40, 0                                       // 000000002CEC: 7E500280
	v_and_b32_e32 v36, 0xffff, v10                             // 000000002CF0: 264814FF 0000FFFF
	v_lshrrev_b32_e32 v37, 16, v10                             // 000000002CF8: 204A1490
	v_and_b32_e32 v38, 0xffff, v22                             // 000000002CFC: 264C2CFF 0000FFFF
	v_lshrrev_b32_e32 v39, 16, v22                             // 000000002D04: 204E2C90
	v_cvt_f32_bf16_e32 v36, v36                                // 000000002D08: 7E48B724
	v_cvt_f32_bf16_e32 v38, v38                                // 000000002D0C: 7E4CB726
	v_cvt_f32_bf16_e32 v37, v37                                // 000000002D10: 7E4AB725
	v_cvt_f32_bf16_e32 v39, v39                                // 000000002D14: 7E4EB727
	v_fma_f32 v40, v36, v38, v40                               // 000000002D18: D1CB0028 04A24D24
	v_fma_f32 v40, v37, v39, v40                               // 000000002D20: D1CB0028 04A24F25
	v_and_b32_e32 v36, 0xffff, v11                             // 000000002D28: 264816FF 0000FFFF
	v_lshrrev_b32_e32 v37, 16, v11                             // 000000002D30: 204A1690
	v_and_b32_e32 v38, 0xffff, v23                             // 000000002D34: 264C2EFF 0000FFFF
	v_lshrrev_b32_e32 v39, 16, v23                             // 000000002D3C: 204E2E90
	v_cvt_f32_bf16_e32 v36, v36                                // 000000002D40: 7E48B724
	v_cvt_f32_bf16_e32 v38, v38                                // 000000002D44: 7E4CB726
	v_cvt_f32_bf16_e32 v37, v37                                // 000000002D48: 7E4AB725
	v_cvt_f32_bf16_e32 v39, v39                                // 000000002D4C: 7E4EB727
	v_fma_f32 v40, v36, v38, v40                               // 000000002D50: D1CB0028 04A24D24
	v_fma_f32 v40, v37, v39, v40                               // 000000002D58: D1CB0028 04A24F25
	v_and_b32_e32 v36, 0xffff, v12                             // 000000002D60: 264818FF 0000FFFF
	v_lshrrev_b32_e32 v37, 16, v12                             // 000000002D68: 204A1890
	v_and_b32_e32 v38, 0xffff, v24                             // 000000002D6C: 264C30FF 0000FFFF
	v_lshrrev_b32_e32 v39, 16, v24                             // 000000002D74: 204E3090
	v_cvt_f32_bf16_e32 v36, v36                                // 000000002D78: 7E48B724
	v_cvt_f32_bf16_e32 v38, v38                                // 000000002D7C: 7E4CB726
	v_cvt_f32_bf16_e32 v37, v37                                // 000000002D80: 7E4AB725
	v_cvt_f32_bf16_e32 v39, v39                                // 000000002D84: 7E4EB727
	v_fma_f32 v40, v36, v38, v40                               // 000000002D88: D1CB0028 04A24D24
	v_fma_f32 v40, v37, v39, v40                               // 000000002D90: D1CB0028 04A24F25
	v_and_b32_e32 v36, 0xffff, v13                             // 000000002D98: 26481AFF 0000FFFF
	v_lshrrev_b32_e32 v37, 16, v13                             // 000000002DA0: 204A1A90
	v_and_b32_e32 v38, 0xffff, v25                             // 000000002DA4: 264C32FF 0000FFFF
	v_lshrrev_b32_e32 v39, 16, v25                             // 000000002DAC: 204E3290
	v_cvt_f32_bf16_e32 v36, v36                                // 000000002DB0: 7E48B724
	v_cvt_f32_bf16_e32 v38, v38                                // 000000002DB4: 7E4CB726
	v_cvt_f32_bf16_e32 v37, v37                                // 000000002DB8: 7E4AB725
	v_cvt_f32_bf16_e32 v39, v39                                // 000000002DBC: 7E4EB727
	v_fma_f32 v40, v36, v38, v40                               // 000000002DC0: D1CB0028 04A24D24
	v_fma_f32 v40, v37, v39, v40                               // 000000002DC8: D1CB0028 04A24F25
	ds_write_b32 v32, v40                                      // 000000002DD0: D81A0000 00002820
	s_waitcnt lgkmcnt(0)                                       // 000000002DD8: BF8CC07F
	s_mov_b64 exec, s[48:49]                                   // 000000002DDC: BEFE0130
	ds_read_b128 v[36:39], v34                                 // 000000002DE0: D9FE0000 24000022
	s_waitcnt lgkmcnt(0)                                       // 000000002DE8: BF8CC07F
	ds_read_b128 v[40:43], v35                                 // 000000002DEC: D9FE0000 28000023
	s_waitcnt lgkmcnt(0)                                       // 000000002DF4: BF8CC07F
	v_add_f32_e32 v30, v36, v30                                // 000000002DF8: 023C3D24
	v_add_f32_e32 v30, v37, v30                                // 000000002DFC: 023C3D25
	v_add_f32_e32 v30, v38, v30                                // 000000002E00: 023C3D26
	v_add_f32_e32 v30, v39, v30                                // 000000002E04: 023C3D27
	v_add_f32_e32 v30, v40, v30                                // 000000002E08: 023C3D28
	v_add_f32_e32 v30, v41, v30                                // 000000002E0C: 023C3D29
	v_add_f32_e32 v30, v42, v30                                // 000000002E10: 023C3D2A
	v_add_f32_e32 v30, v43, v30                                // 000000002E14: 023C3D2B
	s_mov_b64 exec, -1                                         // 000000002E18: BEFE01C1
	s_waitcnt vmcnt(0) expcnt(0) lgkmcnt(0)                    // 000000002E1C: BF8C0000
	s_barrier                                                  // 000000002E20: BF8A0000
	v_mov_b32_e32 v40, 0                                       // 000000002E24: 7E500280
	v_and_b32_e32 v36, 0xffff, v14                             // 000000002E28: 26481CFF 0000FFFF
	v_lshrrev_b32_e32 v37, 16, v14                             // 000000002E30: 204A1C90
	v_and_b32_e32 v38, 0xffff, v26                             // 000000002E34: 264C34FF 0000FFFF
	v_lshrrev_b32_e32 v39, 16, v26                             // 000000002E3C: 204E3490
	v_cvt_f32_bf16_e32 v36, v36                                // 000000002E40: 7E48B724
	v_cvt_f32_bf16_e32 v38, v38                                // 000000002E44: 7E4CB726
	v_cvt_f32_bf16_e32 v37, v37                                // 000000002E48: 7E4AB725
	v_cvt_f32_bf16_e32 v39, v39                                // 000000002E4C: 7E4EB727
	v_fma_f32 v40, v36, v38, v40                               // 000000002E50: D1CB0028 04A24D24
	v_fma_f32 v40, v37, v39, v40                               // 000000002E58: D1CB0028 04A24F25
	v_and_b32_e32 v36, 0xffff, v15                             // 000000002E60: 26481EFF 0000FFFF
	v_lshrrev_b32_e32 v37, 16, v15                             // 000000002E68: 204A1E90
	v_and_b32_e32 v38, 0xffff, v27                             // 000000002E6C: 264C36FF 0000FFFF
	v_lshrrev_b32_e32 v39, 16, v27                             // 000000002E74: 204E3690
	v_cvt_f32_bf16_e32 v36, v36                                // 000000002E78: 7E48B724
	v_cvt_f32_bf16_e32 v38, v38                                // 000000002E7C: 7E4CB726
	v_cvt_f32_bf16_e32 v37, v37                                // 000000002E80: 7E4AB725
	v_cvt_f32_bf16_e32 v39, v39                                // 000000002E84: 7E4EB727
	v_fma_f32 v40, v36, v38, v40                               // 000000002E88: D1CB0028 04A24D24
	v_fma_f32 v40, v37, v39, v40                               // 000000002E90: D1CB0028 04A24F25
	v_and_b32_e32 v36, 0xffff, v16                             // 000000002E98: 264820FF 0000FFFF
	v_lshrrev_b32_e32 v37, 16, v16                             // 000000002EA0: 204A2090
	v_and_b32_e32 v38, 0xffff, v28                             // 000000002EA4: 264C38FF 0000FFFF
	v_lshrrev_b32_e32 v39, 16, v28                             // 000000002EAC: 204E3890
	v_cvt_f32_bf16_e32 v36, v36                                // 000000002EB0: 7E48B724
	v_cvt_f32_bf16_e32 v38, v38                                // 000000002EB4: 7E4CB726
	v_cvt_f32_bf16_e32 v37, v37                                // 000000002EB8: 7E4AB725
	v_cvt_f32_bf16_e32 v39, v39                                // 000000002EBC: 7E4EB727
	v_fma_f32 v40, v36, v38, v40                               // 000000002EC0: D1CB0028 04A24D24
	v_fma_f32 v40, v37, v39, v40                               // 000000002EC8: D1CB0028 04A24F25
	v_and_b32_e32 v36, 0xffff, v17                             // 000000002ED0: 264822FF 0000FFFF
	v_lshrrev_b32_e32 v37, 16, v17                             // 000000002ED8: 204A2290
	v_and_b32_e32 v38, 0xffff, v29                             // 000000002EDC: 264C3AFF 0000FFFF
	v_lshrrev_b32_e32 v39, 16, v29                             // 000000002EE4: 204E3A90
	v_cvt_f32_bf16_e32 v36, v36                                // 000000002EE8: 7E48B724
	v_cvt_f32_bf16_e32 v38, v38                                // 000000002EEC: 7E4CB726
	v_cvt_f32_bf16_e32 v37, v37                                // 000000002EF0: 7E4AB725
	v_cvt_f32_bf16_e32 v39, v39                                // 000000002EF4: 7E4EB727
	v_fma_f32 v40, v36, v38, v40                               // 000000002EF8: D1CB0028 04A24D24
	v_fma_f32 v40, v37, v39, v40                               // 000000002F00: D1CB0028 04A24F25
	ds_write_b32 v32, v40                                      // 000000002F08: D81A0000 00002820
	s_waitcnt lgkmcnt(0)                                       // 000000002F10: BF8CC07F
	s_mov_b64 exec, s[48:49]                                   // 000000002F14: BEFE0130
	ds_read_b128 v[36:39], v34                                 // 000000002F18: D9FE0000 24000022
	s_waitcnt lgkmcnt(0)                                       // 000000002F20: BF8CC07F
	ds_read_b128 v[40:43], v35                                 // 000000002F24: D9FE0000 28000023
	s_waitcnt lgkmcnt(0)                                       // 000000002F2C: BF8CC07F
	v_add_f32_e32 v30, v36, v30                                // 000000002F30: 023C3D24
	v_add_f32_e32 v30, v37, v30                                // 000000002F34: 023C3D25
	v_add_f32_e32 v30, v38, v30                                // 000000002F38: 023C3D26
	v_add_f32_e32 v30, v39, v30                                // 000000002F3C: 023C3D27
	v_add_f32_e32 v30, v40, v30                                // 000000002F40: 023C3D28
	v_add_f32_e32 v30, v41, v30                                // 000000002F44: 023C3D29
	v_add_f32_e32 v30, v42, v30                                // 000000002F48: 023C3D2A
	v_add_f32_e32 v30, v43, v30                                // 000000002F4C: 023C3D2B
	s_mov_b64 exec, -1                                         // 000000002F50: BEFE01C1
	s_mul_i32 s31, s8, 2                                       // 000000002F54: 921F8208
	s_lshl_b32 s31, s31, 3                                     // 000000002F58: 8E1F831F
	v_add_u32_e32 v31, s31, v4                                 // 000000002F5C: 683E081F
	s_mul_i32 s31, s52, 2                                      // 000000002F60: 921F8234
	s_lshl_b32 s31, s31, 3                                     // 000000002F64: 8E1F831F
	v_add_u32_e32 v46, s31, v45                                // 000000002F68: 685C5A1F
	v_and_b32_e32 v44, 7, v0                                   // 000000002F6C: 26580087
	v_cmp_eq_u32_e64 s[48:49], v44, 4                          // 000000002F70: D0CA0030 0001092C
	buffer_load_dwordx4 v[18:21], v46, s[20:23], 0 offen       // 000000002F78: E05C1000 8005122E
	buffer_load_dwordx4 v[6:9], v31, s[12:15], 0 offen         // 000000002F80: E05C1000 8003061F
	v_add_u32_e32 v31, 0x80, v31                               // 000000002F88: 683E3EFF 00000080
	v_add_u32_e32 v46, 0x80, v46                               // 000000002F90: 685C5CFF 00000080
	s_waitcnt vmcnt(0) expcnt(0) lgkmcnt(0)                    // 000000002F98: BF8C0000
	s_barrier                                                  // 000000002F9C: BF8A0000
	buffer_load_dwordx4 v[22:25], v46, s[20:23], 0 offen       // 000000002FA0: E05C1000 8005162E
	buffer_load_dwordx4 v[10:13], v31, s[12:15], 0 offen       // 000000002FA8: E05C1000 80030A1F
	v_add_u32_e32 v31, 0x80, v31                               // 000000002FB0: 683E3EFF 00000080
	v_add_u32_e32 v46, 0x80, v46                               // 000000002FB8: 685C5CFF 00000080
	v_mov_b32_e32 v40, 0                                       // 000000002FC0: 7E500280
	v_and_b32_e32 v36, 0xffff, v6                              // 000000002FC4: 26480CFF 0000FFFF
	v_lshrrev_b32_e32 v37, 16, v6                              // 000000002FCC: 204A0C90
	v_and_b32_e32 v38, 0xffff, v18                             // 000000002FD0: 264C24FF 0000FFFF
	v_lshrrev_b32_e32 v39, 16, v18                             // 000000002FD8: 204E2490
	v_cvt_f32_bf16_e32 v36, v36                                // 000000002FDC: 7E48B724
	v_cvt_f32_bf16_e32 v38, v38                                // 000000002FE0: 7E4CB726
	v_cvt_f32_bf16_e32 v37, v37                                // 000000002FE4: 7E4AB725
	v_cvt_f32_bf16_e32 v39, v39                                // 000000002FE8: 7E4EB727
	v_fma_f32 v40, v36, v38, v40                               // 000000002FEC: D1CB0028 04A24D24
	v_fma_f32 v40, v37, v39, v40                               // 000000002FF4: D1CB0028 04A24F25
	v_and_b32_e32 v36, 0xffff, v7                              // 000000002FFC: 26480EFF 0000FFFF
	v_lshrrev_b32_e32 v37, 16, v7                              // 000000003004: 204A0E90
	v_and_b32_e32 v38, 0xffff, v19                             // 000000003008: 264C26FF 0000FFFF
	v_lshrrev_b32_e32 v39, 16, v19                             // 000000003010: 204E2690
	v_cvt_f32_bf16_e32 v36, v36                                // 000000003014: 7E48B724
	v_cvt_f32_bf16_e32 v38, v38                                // 000000003018: 7E4CB726
	v_cvt_f32_bf16_e32 v37, v37                                // 00000000301C: 7E4AB725
	v_cvt_f32_bf16_e32 v39, v39                                // 000000003020: 7E4EB727
	v_fma_f32 v40, v36, v38, v40                               // 000000003024: D1CB0028 04A24D24
	v_fma_f32 v40, v37, v39, v40                               // 00000000302C: D1CB0028 04A24F25
	v_and_b32_e32 v36, 0xffff, v8                              // 000000003034: 264810FF 0000FFFF
	v_lshrrev_b32_e32 v37, 16, v8                              // 00000000303C: 204A1090
	v_and_b32_e32 v38, 0xffff, v20                             // 000000003040: 264C28FF 0000FFFF
	v_lshrrev_b32_e32 v39, 16, v20                             // 000000003048: 204E2890
	v_cvt_f32_bf16_e32 v36, v36                                // 00000000304C: 7E48B724
	v_cvt_f32_bf16_e32 v38, v38                                // 000000003050: 7E4CB726
	v_cvt_f32_bf16_e32 v37, v37                                // 000000003054: 7E4AB725
	v_cvt_f32_bf16_e32 v39, v39                                // 000000003058: 7E4EB727
	v_fma_f32 v40, v36, v38, v40                               // 00000000305C: D1CB0028 04A24D24
	v_fma_f32 v40, v37, v39, v40                               // 000000003064: D1CB0028 04A24F25
	v_and_b32_e32 v36, 0xffff, v9                              // 00000000306C: 264812FF 0000FFFF
	v_lshrrev_b32_e32 v37, 16, v9                              // 000000003074: 204A1290
	v_and_b32_e32 v38, 0xffff, v21                             // 000000003078: 264C2AFF 0000FFFF
	v_lshrrev_b32_e32 v39, 16, v21                             // 000000003080: 204E2A90
	v_cvt_f32_bf16_e32 v36, v36                                // 000000003084: 7E48B724
	v_cvt_f32_bf16_e32 v38, v38                                // 000000003088: 7E4CB726
	v_cvt_f32_bf16_e32 v37, v37                                // 00000000308C: 7E4AB725
	v_cvt_f32_bf16_e32 v39, v39                                // 000000003090: 7E4EB727
	v_fma_f32 v40, v36, v38, v40                               // 000000003094: D1CB0028 04A24D24
	v_fma_f32 v40, v37, v39, v40                               // 00000000309C: D1CB0028 04A24F25
	ds_write_b32 v32, v40                                      // 0000000030A4: D81A0000 00002820
	s_waitcnt lgkmcnt(0)                                       // 0000000030AC: BF8CC07F
	s_mov_b64 exec, s[48:49]                                   // 0000000030B0: BEFE0130
	ds_read_b128 v[36:39], v34                                 // 0000000030B4: D9FE0000 24000022
	s_waitcnt lgkmcnt(0)                                       // 0000000030BC: BF8CC07F
	ds_read_b128 v[40:43], v35                                 // 0000000030C0: D9FE0000 28000023
	s_waitcnt lgkmcnt(0)                                       // 0000000030C8: BF8CC07F
	v_add_f32_e32 v30, v36, v30                                // 0000000030CC: 023C3D24
	v_add_f32_e32 v30, v37, v30                                // 0000000030D0: 023C3D25
	v_add_f32_e32 v30, v38, v30                                // 0000000030D4: 023C3D26
	v_add_f32_e32 v30, v39, v30                                // 0000000030D8: 023C3D27
	v_add_f32_e32 v30, v40, v30                                // 0000000030DC: 023C3D28
	v_add_f32_e32 v30, v41, v30                                // 0000000030E0: 023C3D29
	v_add_f32_e32 v30, v42, v30                                // 0000000030E4: 023C3D2A
	v_add_f32_e32 v30, v43, v30                                // 0000000030E8: 023C3D2B
	s_mov_b64 exec, -1                                         // 0000000030EC: BEFE01C1
	s_waitcnt vmcnt(0) expcnt(0) lgkmcnt(0)                    // 0000000030F0: BF8C0000
	s_barrier                                                  // 0000000030F4: BF8A0000
	v_mov_b32_e32 v26, 0                                       // 0000000030F8: 7E340280
	v_mov_b32_e32 v14, 0                                       // 0000000030FC: 7E1C0280
	v_mov_b32_e32 v27, 0                                       // 000000003100: 7E360280
	v_mov_b32_e32 v15, 0                                       // 000000003104: 7E1E0280
	v_mov_b32_e32 v28, 0                                       // 000000003108: 7E380280
	v_mov_b32_e32 v16, 0                                       // 00000000310C: 7E200280
	v_mov_b32_e32 v29, 0                                       // 000000003110: 7E3A0280
	v_mov_b32_e32 v17, 0                                       // 000000003114: 7E220280
	s_mov_b64 exec, s[36:37]                                   // 000000003118: BEFE0124
	buffer_load_dwordx4 v[26:29], v46, s[20:23], 0 offen       // 00000000311C: E05C1000 80051A2E
	buffer_load_dwordx4 v[14:17], v31, s[12:15], 0 offen       // 000000003124: E05C1000 80030E1F
	s_mov_b64 exec, -1                                         // 00000000312C: BEFE01C1
	v_add_u32_e32 v31, 0x80, v31                               // 000000003130: 683E3EFF 00000080
	v_add_u32_e32 v46, 0x80, v46                               // 000000003138: 685C5CFF 00000080
	v_mov_b32_e32 v40, 0                                       // 000000003140: 7E500280
	v_and_b32_e32 v36, 0xffff, v10                             // 000000003144: 264814FF 0000FFFF
	v_lshrrev_b32_e32 v37, 16, v10                             // 00000000314C: 204A1490
	v_and_b32_e32 v38, 0xffff, v22                             // 000000003150: 264C2CFF 0000FFFF
	v_lshrrev_b32_e32 v39, 16, v22                             // 000000003158: 204E2C90
	v_cvt_f32_bf16_e32 v36, v36                                // 00000000315C: 7E48B724
	v_cvt_f32_bf16_e32 v38, v38                                // 000000003160: 7E4CB726
	v_cvt_f32_bf16_e32 v37, v37                                // 000000003164: 7E4AB725
	v_cvt_f32_bf16_e32 v39, v39                                // 000000003168: 7E4EB727
	v_fma_f32 v40, v36, v38, v40                               // 00000000316C: D1CB0028 04A24D24
	v_fma_f32 v40, v37, v39, v40                               // 000000003174: D1CB0028 04A24F25
	v_and_b32_e32 v36, 0xffff, v11                             // 00000000317C: 264816FF 0000FFFF
	v_lshrrev_b32_e32 v37, 16, v11                             // 000000003184: 204A1690
	v_and_b32_e32 v38, 0xffff, v23                             // 000000003188: 264C2EFF 0000FFFF
	v_lshrrev_b32_e32 v39, 16, v23                             // 000000003190: 204E2E90
	v_cvt_f32_bf16_e32 v36, v36                                // 000000003194: 7E48B724
	v_cvt_f32_bf16_e32 v38, v38                                // 000000003198: 7E4CB726
	v_cvt_f32_bf16_e32 v37, v37                                // 00000000319C: 7E4AB725
	v_cvt_f32_bf16_e32 v39, v39                                // 0000000031A0: 7E4EB727
	v_fma_f32 v40, v36, v38, v40                               // 0000000031A4: D1CB0028 04A24D24
	v_fma_f32 v40, v37, v39, v40                               // 0000000031AC: D1CB0028 04A24F25
	v_and_b32_e32 v36, 0xffff, v12                             // 0000000031B4: 264818FF 0000FFFF
	v_lshrrev_b32_e32 v37, 16, v12                             // 0000000031BC: 204A1890
	v_and_b32_e32 v38, 0xffff, v24                             // 0000000031C0: 264C30FF 0000FFFF
	v_lshrrev_b32_e32 v39, 16, v24                             // 0000000031C8: 204E3090
	v_cvt_f32_bf16_e32 v36, v36                                // 0000000031CC: 7E48B724
	v_cvt_f32_bf16_e32 v38, v38                                // 0000000031D0: 7E4CB726
	v_cvt_f32_bf16_e32 v37, v37                                // 0000000031D4: 7E4AB725
	v_cvt_f32_bf16_e32 v39, v39                                // 0000000031D8: 7E4EB727
	v_fma_f32 v40, v36, v38, v40                               // 0000000031DC: D1CB0028 04A24D24
	v_fma_f32 v40, v37, v39, v40                               // 0000000031E4: D1CB0028 04A24F25
	v_and_b32_e32 v36, 0xffff, v13                             // 0000000031EC: 26481AFF 0000FFFF
	v_lshrrev_b32_e32 v37, 16, v13                             // 0000000031F4: 204A1A90
	v_and_b32_e32 v38, 0xffff, v25                             // 0000000031F8: 264C32FF 0000FFFF
	v_lshrrev_b32_e32 v39, 16, v25                             // 000000003200: 204E3290
	v_cvt_f32_bf16_e32 v36, v36                                // 000000003204: 7E48B724
	v_cvt_f32_bf16_e32 v38, v38                                // 000000003208: 7E4CB726
	v_cvt_f32_bf16_e32 v37, v37                                // 00000000320C: 7E4AB725
	v_cvt_f32_bf16_e32 v39, v39                                // 000000003210: 7E4EB727
	v_fma_f32 v40, v36, v38, v40                               // 000000003214: D1CB0028 04A24D24
	v_fma_f32 v40, v37, v39, v40                               // 00000000321C: D1CB0028 04A24F25
	ds_write_b32 v32, v40                                      // 000000003224: D81A0000 00002820
	s_waitcnt lgkmcnt(0)                                       // 00000000322C: BF8CC07F
	s_mov_b64 exec, s[48:49]                                   // 000000003230: BEFE0130
	ds_read_b128 v[36:39], v34                                 // 000000003234: D9FE0000 24000022
	s_waitcnt lgkmcnt(0)                                       // 00000000323C: BF8CC07F
	ds_read_b128 v[40:43], v35                                 // 000000003240: D9FE0000 28000023
	s_waitcnt lgkmcnt(0)                                       // 000000003248: BF8CC07F
	v_add_f32_e32 v30, v36, v30                                // 00000000324C: 023C3D24
	v_add_f32_e32 v30, v37, v30                                // 000000003250: 023C3D25
	v_add_f32_e32 v30, v38, v30                                // 000000003254: 023C3D26
	v_add_f32_e32 v30, v39, v30                                // 000000003258: 023C3D27
	v_add_f32_e32 v30, v40, v30                                // 00000000325C: 023C3D28
	v_add_f32_e32 v30, v41, v30                                // 000000003260: 023C3D29
	v_add_f32_e32 v30, v42, v30                                // 000000003264: 023C3D2A
	v_add_f32_e32 v30, v43, v30                                // 000000003268: 023C3D2B
	s_mov_b64 exec, -1                                         // 00000000326C: BEFE01C1
	s_waitcnt vmcnt(0) expcnt(0) lgkmcnt(0)                    // 000000003270: BF8C0000
	s_barrier                                                  // 000000003274: BF8A0000
	v_mov_b32_e32 v40, 0                                       // 000000003278: 7E500280
	v_and_b32_e32 v36, 0xffff, v14                             // 00000000327C: 26481CFF 0000FFFF
	v_lshrrev_b32_e32 v37, 16, v14                             // 000000003284: 204A1C90
	v_and_b32_e32 v38, 0xffff, v26                             // 000000003288: 264C34FF 0000FFFF
	v_lshrrev_b32_e32 v39, 16, v26                             // 000000003290: 204E3490
	v_cvt_f32_bf16_e32 v36, v36                                // 000000003294: 7E48B724
	v_cvt_f32_bf16_e32 v38, v38                                // 000000003298: 7E4CB726
	v_cvt_f32_bf16_e32 v37, v37                                // 00000000329C: 7E4AB725
	v_cvt_f32_bf16_e32 v39, v39                                // 0000000032A0: 7E4EB727
	v_fma_f32 v40, v36, v38, v40                               // 0000000032A4: D1CB0028 04A24D24
	v_fma_f32 v40, v37, v39, v40                               // 0000000032AC: D1CB0028 04A24F25
	v_and_b32_e32 v36, 0xffff, v15                             // 0000000032B4: 26481EFF 0000FFFF
	v_lshrrev_b32_e32 v37, 16, v15                             // 0000000032BC: 204A1E90
	v_and_b32_e32 v38, 0xffff, v27                             // 0000000032C0: 264C36FF 0000FFFF
	v_lshrrev_b32_e32 v39, 16, v27                             // 0000000032C8: 204E3690
	v_cvt_f32_bf16_e32 v36, v36                                // 0000000032CC: 7E48B724
	v_cvt_f32_bf16_e32 v38, v38                                // 0000000032D0: 7E4CB726
	v_cvt_f32_bf16_e32 v37, v37                                // 0000000032D4: 7E4AB725
	v_cvt_f32_bf16_e32 v39, v39                                // 0000000032D8: 7E4EB727
	v_fma_f32 v40, v36, v38, v40                               // 0000000032DC: D1CB0028 04A24D24
	v_fma_f32 v40, v37, v39, v40                               // 0000000032E4: D1CB0028 04A24F25
	v_and_b32_e32 v36, 0xffff, v16                             // 0000000032EC: 264820FF 0000FFFF
	v_lshrrev_b32_e32 v37, 16, v16                             // 0000000032F4: 204A2090
	v_and_b32_e32 v38, 0xffff, v28                             // 0000000032F8: 264C38FF 0000FFFF
	v_lshrrev_b32_e32 v39, 16, v28                             // 000000003300: 204E3890
	v_cvt_f32_bf16_e32 v36, v36                                // 000000003304: 7E48B724
	v_cvt_f32_bf16_e32 v38, v38                                // 000000003308: 7E4CB726
	v_cvt_f32_bf16_e32 v37, v37                                // 00000000330C: 7E4AB725
	v_cvt_f32_bf16_e32 v39, v39                                // 000000003310: 7E4EB727
	v_fma_f32 v40, v36, v38, v40                               // 000000003314: D1CB0028 04A24D24
	v_fma_f32 v40, v37, v39, v40                               // 00000000331C: D1CB0028 04A24F25
	v_and_b32_e32 v36, 0xffff, v17                             // 000000003324: 264822FF 0000FFFF
	v_lshrrev_b32_e32 v37, 16, v17                             // 00000000332C: 204A2290
	v_and_b32_e32 v38, 0xffff, v29                             // 000000003330: 264C3AFF 0000FFFF
	v_lshrrev_b32_e32 v39, 16, v29                             // 000000003338: 204E3A90
	v_cvt_f32_bf16_e32 v36, v36                                // 00000000333C: 7E48B724
	v_cvt_f32_bf16_e32 v38, v38                                // 000000003340: 7E4CB726
	v_cvt_f32_bf16_e32 v37, v37                                // 000000003344: 7E4AB725
	v_cvt_f32_bf16_e32 v39, v39                                // 000000003348: 7E4EB727
	v_fma_f32 v40, v36, v38, v40                               // 00000000334C: D1CB0028 04A24D24
	v_fma_f32 v40, v37, v39, v40                               // 000000003354: D1CB0028 04A24F25
	ds_write_b32 v32, v40                                      // 00000000335C: D81A0000 00002820
	s_waitcnt lgkmcnt(0)                                       // 000000003364: BF8CC07F
	s_mov_b64 exec, s[48:49]                                   // 000000003368: BEFE0130
	ds_read_b128 v[36:39], v34                                 // 00000000336C: D9FE0000 24000022
	s_waitcnt lgkmcnt(0)                                       // 000000003374: BF8CC07F
	ds_read_b128 v[40:43], v35                                 // 000000003378: D9FE0000 28000023
	s_waitcnt lgkmcnt(0)                                       // 000000003380: BF8CC07F
	v_add_f32_e32 v30, v36, v30                                // 000000003384: 023C3D24
	v_add_f32_e32 v30, v37, v30                                // 000000003388: 023C3D25
	v_add_f32_e32 v30, v38, v30                                // 00000000338C: 023C3D26
	v_add_f32_e32 v30, v39, v30                                // 000000003390: 023C3D27
	v_add_f32_e32 v30, v40, v30                                // 000000003394: 023C3D28
	v_add_f32_e32 v30, v41, v30                                // 000000003398: 023C3D29
	v_add_f32_e32 v30, v42, v30                                // 00000000339C: 023C3D2A
	v_add_f32_e32 v30, v43, v30                                // 0000000033A0: 023C3D2B
	s_mov_b64 exec, -1                                         // 0000000033A4: BEFE01C1
	s_mul_i32 s31, s8, 3                                       // 0000000033A8: 921F8308
	s_lshl_b32 s31, s31, 3                                     // 0000000033AC: 8E1F831F
	v_add_u32_e32 v31, s31, v4                                 // 0000000033B0: 683E081F
	s_mul_i32 s31, s52, 3                                      // 0000000033B4: 921F8334
	s_lshl_b32 s31, s31, 3                                     // 0000000033B8: 8E1F831F
	v_add_u32_e32 v46, s31, v45                                // 0000000033BC: 685C5A1F
	v_and_b32_e32 v44, 7, v0                                   // 0000000033C0: 26580087
	v_cmp_eq_u32_e64 s[48:49], v44, 6                          // 0000000033C4: D0CA0030 00010D2C
	buffer_load_dwordx4 v[18:21], v46, s[20:23], 0 offen       // 0000000033CC: E05C1000 8005122E
	buffer_load_dwordx4 v[6:9], v31, s[12:15], 0 offen         // 0000000033D4: E05C1000 8003061F
	v_add_u32_e32 v31, 0x80, v31                               // 0000000033DC: 683E3EFF 00000080
	v_add_u32_e32 v46, 0x80, v46                               // 0000000033E4: 685C5CFF 00000080
	s_waitcnt vmcnt(0) expcnt(0) lgkmcnt(0)                    // 0000000033EC: BF8C0000
	s_barrier                                                  // 0000000033F0: BF8A0000
	buffer_load_dwordx4 v[22:25], v46, s[20:23], 0 offen       // 0000000033F4: E05C1000 8005162E
	buffer_load_dwordx4 v[10:13], v31, s[12:15], 0 offen       // 0000000033FC: E05C1000 80030A1F
	v_add_u32_e32 v31, 0x80, v31                               // 000000003404: 683E3EFF 00000080
	v_add_u32_e32 v46, 0x80, v46                               // 00000000340C: 685C5CFF 00000080
	v_mov_b32_e32 v40, 0                                       // 000000003414: 7E500280
	v_and_b32_e32 v36, 0xffff, v6                              // 000000003418: 26480CFF 0000FFFF
	v_lshrrev_b32_e32 v37, 16, v6                              // 000000003420: 204A0C90
	v_and_b32_e32 v38, 0xffff, v18                             // 000000003424: 264C24FF 0000FFFF
	v_lshrrev_b32_e32 v39, 16, v18                             // 00000000342C: 204E2490
	v_cvt_f32_bf16_e32 v36, v36                                // 000000003430: 7E48B724
	v_cvt_f32_bf16_e32 v38, v38                                // 000000003434: 7E4CB726
	v_cvt_f32_bf16_e32 v37, v37                                // 000000003438: 7E4AB725
	v_cvt_f32_bf16_e32 v39, v39                                // 00000000343C: 7E4EB727
	v_fma_f32 v40, v36, v38, v40                               // 000000003440: D1CB0028 04A24D24
	v_fma_f32 v40, v37, v39, v40                               // 000000003448: D1CB0028 04A24F25
	v_and_b32_e32 v36, 0xffff, v7                              // 000000003450: 26480EFF 0000FFFF
	v_lshrrev_b32_e32 v37, 16, v7                              // 000000003458: 204A0E90
	v_and_b32_e32 v38, 0xffff, v19                             // 00000000345C: 264C26FF 0000FFFF
	v_lshrrev_b32_e32 v39, 16, v19                             // 000000003464: 204E2690
	v_cvt_f32_bf16_e32 v36, v36                                // 000000003468: 7E48B724
	v_cvt_f32_bf16_e32 v38, v38                                // 00000000346C: 7E4CB726
	v_cvt_f32_bf16_e32 v37, v37                                // 000000003470: 7E4AB725
	v_cvt_f32_bf16_e32 v39, v39                                // 000000003474: 7E4EB727
	v_fma_f32 v40, v36, v38, v40                               // 000000003478: D1CB0028 04A24D24
	v_fma_f32 v40, v37, v39, v40                               // 000000003480: D1CB0028 04A24F25
	v_and_b32_e32 v36, 0xffff, v8                              // 000000003488: 264810FF 0000FFFF
	v_lshrrev_b32_e32 v37, 16, v8                              // 000000003490: 204A1090
	v_and_b32_e32 v38, 0xffff, v20                             // 000000003494: 264C28FF 0000FFFF
	v_lshrrev_b32_e32 v39, 16, v20                             // 00000000349C: 204E2890
	v_cvt_f32_bf16_e32 v36, v36                                // 0000000034A0: 7E48B724
	v_cvt_f32_bf16_e32 v38, v38                                // 0000000034A4: 7E4CB726
	v_cvt_f32_bf16_e32 v37, v37                                // 0000000034A8: 7E4AB725
	v_cvt_f32_bf16_e32 v39, v39                                // 0000000034AC: 7E4EB727
	v_fma_f32 v40, v36, v38, v40                               // 0000000034B0: D1CB0028 04A24D24
	v_fma_f32 v40, v37, v39, v40                               // 0000000034B8: D1CB0028 04A24F25
	v_and_b32_e32 v36, 0xffff, v9                              // 0000000034C0: 264812FF 0000FFFF
	v_lshrrev_b32_e32 v37, 16, v9                              // 0000000034C8: 204A1290
	v_and_b32_e32 v38, 0xffff, v21                             // 0000000034CC: 264C2AFF 0000FFFF
	v_lshrrev_b32_e32 v39, 16, v21                             // 0000000034D4: 204E2A90
	v_cvt_f32_bf16_e32 v36, v36                                // 0000000034D8: 7E48B724
	v_cvt_f32_bf16_e32 v38, v38                                // 0000000034DC: 7E4CB726
	v_cvt_f32_bf16_e32 v37, v37                                // 0000000034E0: 7E4AB725
	v_cvt_f32_bf16_e32 v39, v39                                // 0000000034E4: 7E4EB727
	v_fma_f32 v40, v36, v38, v40                               // 0000000034E8: D1CB0028 04A24D24
	v_fma_f32 v40, v37, v39, v40                               // 0000000034F0: D1CB0028 04A24F25
	ds_write_b32 v32, v40                                      // 0000000034F8: D81A0000 00002820
	s_waitcnt lgkmcnt(0)                                       // 000000003500: BF8CC07F
	s_mov_b64 exec, s[48:49]                                   // 000000003504: BEFE0130
	ds_read_b128 v[36:39], v34                                 // 000000003508: D9FE0000 24000022
	s_waitcnt lgkmcnt(0)                                       // 000000003510: BF8CC07F
	ds_read_b128 v[40:43], v35                                 // 000000003514: D9FE0000 28000023
	s_waitcnt lgkmcnt(0)                                       // 00000000351C: BF8CC07F
	v_add_f32_e32 v30, v36, v30                                // 000000003520: 023C3D24
	v_add_f32_e32 v30, v37, v30                                // 000000003524: 023C3D25
	v_add_f32_e32 v30, v38, v30                                // 000000003528: 023C3D26
	v_add_f32_e32 v30, v39, v30                                // 00000000352C: 023C3D27
	v_add_f32_e32 v30, v40, v30                                // 000000003530: 023C3D28
	v_add_f32_e32 v30, v41, v30                                // 000000003534: 023C3D29
	v_add_f32_e32 v30, v42, v30                                // 000000003538: 023C3D2A
	v_add_f32_e32 v30, v43, v30                                // 00000000353C: 023C3D2B
	s_mov_b64 exec, -1                                         // 000000003540: BEFE01C1
	s_waitcnt vmcnt(0) expcnt(0) lgkmcnt(0)                    // 000000003544: BF8C0000
	s_barrier                                                  // 000000003548: BF8A0000
	v_mov_b32_e32 v26, 0                                       // 00000000354C: 7E340280
	v_mov_b32_e32 v14, 0                                       // 000000003550: 7E1C0280
	v_mov_b32_e32 v27, 0                                       // 000000003554: 7E360280
	v_mov_b32_e32 v15, 0                                       // 000000003558: 7E1E0280
	v_mov_b32_e32 v28, 0                                       // 00000000355C: 7E380280
	v_mov_b32_e32 v16, 0                                       // 000000003560: 7E200280
	v_mov_b32_e32 v29, 0                                       // 000000003564: 7E3A0280
	v_mov_b32_e32 v17, 0                                       // 000000003568: 7E220280
	s_mov_b64 exec, s[36:37]                                   // 00000000356C: BEFE0124
	buffer_load_dwordx4 v[26:29], v46, s[20:23], 0 offen       // 000000003570: E05C1000 80051A2E
	buffer_load_dwordx4 v[14:17], v31, s[12:15], 0 offen       // 000000003578: E05C1000 80030E1F
	s_mov_b64 exec, -1                                         // 000000003580: BEFE01C1
	v_add_u32_e32 v31, 0x80, v31                               // 000000003584: 683E3EFF 00000080
	v_add_u32_e32 v46, 0x80, v46                               // 00000000358C: 685C5CFF 00000080
	v_mov_b32_e32 v40, 0                                       // 000000003594: 7E500280
	v_and_b32_e32 v36, 0xffff, v10                             // 000000003598: 264814FF 0000FFFF
	v_lshrrev_b32_e32 v37, 16, v10                             // 0000000035A0: 204A1490
	v_and_b32_e32 v38, 0xffff, v22                             // 0000000035A4: 264C2CFF 0000FFFF
	v_lshrrev_b32_e32 v39, 16, v22                             // 0000000035AC: 204E2C90
	v_cvt_f32_bf16_e32 v36, v36                                // 0000000035B0: 7E48B724
	v_cvt_f32_bf16_e32 v38, v38                                // 0000000035B4: 7E4CB726
	v_cvt_f32_bf16_e32 v37, v37                                // 0000000035B8: 7E4AB725
	v_cvt_f32_bf16_e32 v39, v39                                // 0000000035BC: 7E4EB727
	v_fma_f32 v40, v36, v38, v40                               // 0000000035C0: D1CB0028 04A24D24
	v_fma_f32 v40, v37, v39, v40                               // 0000000035C8: D1CB0028 04A24F25
	v_and_b32_e32 v36, 0xffff, v11                             // 0000000035D0: 264816FF 0000FFFF
	v_lshrrev_b32_e32 v37, 16, v11                             // 0000000035D8: 204A1690
	v_and_b32_e32 v38, 0xffff, v23                             // 0000000035DC: 264C2EFF 0000FFFF
	v_lshrrev_b32_e32 v39, 16, v23                             // 0000000035E4: 204E2E90
	v_cvt_f32_bf16_e32 v36, v36                                // 0000000035E8: 7E48B724
	v_cvt_f32_bf16_e32 v38, v38                                // 0000000035EC: 7E4CB726
	v_cvt_f32_bf16_e32 v37, v37                                // 0000000035F0: 7E4AB725
	v_cvt_f32_bf16_e32 v39, v39                                // 0000000035F4: 7E4EB727
	v_fma_f32 v40, v36, v38, v40                               // 0000000035F8: D1CB0028 04A24D24
	v_fma_f32 v40, v37, v39, v40                               // 000000003600: D1CB0028 04A24F25
	v_and_b32_e32 v36, 0xffff, v12                             // 000000003608: 264818FF 0000FFFF
	v_lshrrev_b32_e32 v37, 16, v12                             // 000000003610: 204A1890
	v_and_b32_e32 v38, 0xffff, v24                             // 000000003614: 264C30FF 0000FFFF
	v_lshrrev_b32_e32 v39, 16, v24                             // 00000000361C: 204E3090
	v_cvt_f32_bf16_e32 v36, v36                                // 000000003620: 7E48B724
	v_cvt_f32_bf16_e32 v38, v38                                // 000000003624: 7E4CB726
	v_cvt_f32_bf16_e32 v37, v37                                // 000000003628: 7E4AB725
	v_cvt_f32_bf16_e32 v39, v39                                // 00000000362C: 7E4EB727
	v_fma_f32 v40, v36, v38, v40                               // 000000003630: D1CB0028 04A24D24
	v_fma_f32 v40, v37, v39, v40                               // 000000003638: D1CB0028 04A24F25
	v_and_b32_e32 v36, 0xffff, v13                             // 000000003640: 26481AFF 0000FFFF
	v_lshrrev_b32_e32 v37, 16, v13                             // 000000003648: 204A1A90
	v_and_b32_e32 v38, 0xffff, v25                             // 00000000364C: 264C32FF 0000FFFF
	v_lshrrev_b32_e32 v39, 16, v25                             // 000000003654: 204E3290
	v_cvt_f32_bf16_e32 v36, v36                                // 000000003658: 7E48B724
	v_cvt_f32_bf16_e32 v38, v38                                // 00000000365C: 7E4CB726
	v_cvt_f32_bf16_e32 v37, v37                                // 000000003660: 7E4AB725
	v_cvt_f32_bf16_e32 v39, v39                                // 000000003664: 7E4EB727
	v_fma_f32 v40, v36, v38, v40                               // 000000003668: D1CB0028 04A24D24
	v_fma_f32 v40, v37, v39, v40                               // 000000003670: D1CB0028 04A24F25
	ds_write_b32 v32, v40                                      // 000000003678: D81A0000 00002820
	s_waitcnt lgkmcnt(0)                                       // 000000003680: BF8CC07F
	s_mov_b64 exec, s[48:49]                                   // 000000003684: BEFE0130
	ds_read_b128 v[36:39], v34                                 // 000000003688: D9FE0000 24000022
	s_waitcnt lgkmcnt(0)                                       // 000000003690: BF8CC07F
	ds_read_b128 v[40:43], v35                                 // 000000003694: D9FE0000 28000023
	s_waitcnt lgkmcnt(0)                                       // 00000000369C: BF8CC07F
	v_add_f32_e32 v30, v36, v30                                // 0000000036A0: 023C3D24
	v_add_f32_e32 v30, v37, v30                                // 0000000036A4: 023C3D25
	v_add_f32_e32 v30, v38, v30                                // 0000000036A8: 023C3D26
	v_add_f32_e32 v30, v39, v30                                // 0000000036AC: 023C3D27
	v_add_f32_e32 v30, v40, v30                                // 0000000036B0: 023C3D28
	v_add_f32_e32 v30, v41, v30                                // 0000000036B4: 023C3D29
	v_add_f32_e32 v30, v42, v30                                // 0000000036B8: 023C3D2A
	v_add_f32_e32 v30, v43, v30                                // 0000000036BC: 023C3D2B
	s_mov_b64 exec, -1                                         // 0000000036C0: BEFE01C1
	s_waitcnt vmcnt(0) expcnt(0) lgkmcnt(0)                    // 0000000036C4: BF8C0000
	s_barrier                                                  // 0000000036C8: BF8A0000
	v_mov_b32_e32 v40, 0                                       // 0000000036CC: 7E500280
	v_and_b32_e32 v36, 0xffff, v14                             // 0000000036D0: 26481CFF 0000FFFF
	v_lshrrev_b32_e32 v37, 16, v14                             // 0000000036D8: 204A1C90
	v_and_b32_e32 v38, 0xffff, v26                             // 0000000036DC: 264C34FF 0000FFFF
	v_lshrrev_b32_e32 v39, 16, v26                             // 0000000036E4: 204E3490
	v_cvt_f32_bf16_e32 v36, v36                                // 0000000036E8: 7E48B724
	v_cvt_f32_bf16_e32 v38, v38                                // 0000000036EC: 7E4CB726
	v_cvt_f32_bf16_e32 v37, v37                                // 0000000036F0: 7E4AB725
	v_cvt_f32_bf16_e32 v39, v39                                // 0000000036F4: 7E4EB727
	v_fma_f32 v40, v36, v38, v40                               // 0000000036F8: D1CB0028 04A24D24
	v_fma_f32 v40, v37, v39, v40                               // 000000003700: D1CB0028 04A24F25
	v_and_b32_e32 v36, 0xffff, v15                             // 000000003708: 26481EFF 0000FFFF
	v_lshrrev_b32_e32 v37, 16, v15                             // 000000003710: 204A1E90
	v_and_b32_e32 v38, 0xffff, v27                             // 000000003714: 264C36FF 0000FFFF
	v_lshrrev_b32_e32 v39, 16, v27                             // 00000000371C: 204E3690
	v_cvt_f32_bf16_e32 v36, v36                                // 000000003720: 7E48B724
	v_cvt_f32_bf16_e32 v38, v38                                // 000000003724: 7E4CB726
	v_cvt_f32_bf16_e32 v37, v37                                // 000000003728: 7E4AB725
	v_cvt_f32_bf16_e32 v39, v39                                // 00000000372C: 7E4EB727
	v_fma_f32 v40, v36, v38, v40                               // 000000003730: D1CB0028 04A24D24
	v_fma_f32 v40, v37, v39, v40                               // 000000003738: D1CB0028 04A24F25
	v_and_b32_e32 v36, 0xffff, v16                             // 000000003740: 264820FF 0000FFFF
	v_lshrrev_b32_e32 v37, 16, v16                             // 000000003748: 204A2090
	v_and_b32_e32 v38, 0xffff, v28                             // 00000000374C: 264C38FF 0000FFFF
	v_lshrrev_b32_e32 v39, 16, v28                             // 000000003754: 204E3890
	v_cvt_f32_bf16_e32 v36, v36                                // 000000003758: 7E48B724
	v_cvt_f32_bf16_e32 v38, v38                                // 00000000375C: 7E4CB726
	v_cvt_f32_bf16_e32 v37, v37                                // 000000003760: 7E4AB725
	v_cvt_f32_bf16_e32 v39, v39                                // 000000003764: 7E4EB727
	v_fma_f32 v40, v36, v38, v40                               // 000000003768: D1CB0028 04A24D24
	v_fma_f32 v40, v37, v39, v40                               // 000000003770: D1CB0028 04A24F25
	v_and_b32_e32 v36, 0xffff, v17                             // 000000003778: 264822FF 0000FFFF
	v_lshrrev_b32_e32 v37, 16, v17                             // 000000003780: 204A2290
	v_and_b32_e32 v38, 0xffff, v29                             // 000000003784: 264C3AFF 0000FFFF
	v_lshrrev_b32_e32 v39, 16, v29                             // 00000000378C: 204E3A90
	v_cvt_f32_bf16_e32 v36, v36                                // 000000003790: 7E48B724
	v_cvt_f32_bf16_e32 v38, v38                                // 000000003794: 7E4CB726
	v_cvt_f32_bf16_e32 v37, v37                                // 000000003798: 7E4AB725
	v_cvt_f32_bf16_e32 v39, v39                                // 00000000379C: 7E4EB727
	v_fma_f32 v40, v36, v38, v40                               // 0000000037A0: D1CB0028 04A24D24
	v_fma_f32 v40, v37, v39, v40                               // 0000000037A8: D1CB0028 04A24F25
	ds_write_b32 v32, v40                                      // 0000000037B0: D81A0000 00002820
	s_waitcnt lgkmcnt(0)                                       // 0000000037B8: BF8CC07F
	s_mov_b64 exec, s[48:49]                                   // 0000000037BC: BEFE0130
	ds_read_b128 v[36:39], v34                                 // 0000000037C0: D9FE0000 24000022
	s_waitcnt lgkmcnt(0)                                       // 0000000037C8: BF8CC07F
	ds_read_b128 v[40:43], v35                                 // 0000000037CC: D9FE0000 28000023
	s_waitcnt lgkmcnt(0)                                       // 0000000037D4: BF8CC07F
	v_add_f32_e32 v30, v36, v30                                // 0000000037D8: 023C3D24
	v_add_f32_e32 v30, v37, v30                                // 0000000037DC: 023C3D25
	v_add_f32_e32 v30, v38, v30                                // 0000000037E0: 023C3D26
	v_add_f32_e32 v30, v39, v30                                // 0000000037E4: 023C3D27
	v_add_f32_e32 v30, v40, v30                                // 0000000037E8: 023C3D28
	v_add_f32_e32 v30, v41, v30                                // 0000000037EC: 023C3D29
	v_add_f32_e32 v30, v42, v30                                // 0000000037F0: 023C3D2A
	v_add_f32_e32 v30, v43, v30                                // 0000000037F4: 023C3D2B
	s_mov_b64 exec, -1                                         // 0000000037F8: BEFE01C1
	s_mov_b64 exec, s[38:39]                                   // 0000000037FC: BEFE0126
	buffer_store_dword v30, v5, s[16:19], 0 offen              // 000000003800: E0701000 80041E05

0000000000003808 <label_0502>:
	s_waitcnt vmcnt(0) expcnt(0) lgkmcnt(0)                    // 000000003808: BF8C0000
	s_endpgm                                                   // 00000000380C: BF810000
